;; amdgpu-corpus repo=ROCm/rocFFT kind=compiled arch=gfx906 opt=O3
	.text
	.amdgcn_target "amdgcn-amd-amdhsa--gfx906"
	.amdhsa_code_object_version 6
	.protected	fft_rtc_fwd_len312_factors_13_4_3_2_wgs_52_tpt_26_half_op_CI_CI_unitstride_sbrr_C2R_dirReg ; -- Begin function fft_rtc_fwd_len312_factors_13_4_3_2_wgs_52_tpt_26_half_op_CI_CI_unitstride_sbrr_C2R_dirReg
	.globl	fft_rtc_fwd_len312_factors_13_4_3_2_wgs_52_tpt_26_half_op_CI_CI_unitstride_sbrr_C2R_dirReg
	.p2align	8
	.type	fft_rtc_fwd_len312_factors_13_4_3_2_wgs_52_tpt_26_half_op_CI_CI_unitstride_sbrr_C2R_dirReg,@function
fft_rtc_fwd_len312_factors_13_4_3_2_wgs_52_tpt_26_half_op_CI_CI_unitstride_sbrr_C2R_dirReg: ; @fft_rtc_fwd_len312_factors_13_4_3_2_wgs_52_tpt_26_half_op_CI_CI_unitstride_sbrr_C2R_dirReg
; %bb.0:
	s_load_dwordx4 s[8:11], s[4:5], 0x58
	s_load_dwordx4 s[12:15], s[4:5], 0x0
	;; [unrolled: 1-line block ×3, first 2 shown]
	v_mul_u32_u24_e32 v1, 0x9d9, v0
	v_lshrrev_b32_e32 v5, 16, v1
	v_mov_b32_e32 v8, 0
	s_waitcnt lgkmcnt(0)
	v_cmp_lt_u64_e64 s[0:1], s[14:15], 2
	v_mov_b32_e32 v6, 0
	v_lshl_add_u32 v10, s6, 1, v5
	v_mov_b32_e32 v11, v8
	s_and_b64 vcc, exec, s[0:1]
	v_mov_b32_e32 v7, 0
	s_cbranch_vccnz .LBB0_8
; %bb.1:
	s_load_dwordx2 s[0:1], s[4:5], 0x10
	s_add_u32 s2, s18, 8
	s_addc_u32 s3, s19, 0
	s_add_u32 s6, s16, 8
	s_addc_u32 s7, s17, 0
	v_mov_b32_e32 v6, 0
	s_waitcnt lgkmcnt(0)
	s_add_u32 s20, s0, 8
	v_mov_b32_e32 v7, 0
	v_mov_b32_e32 v1, v6
	s_addc_u32 s21, s1, 0
	s_mov_b64 s[22:23], 1
	v_mov_b32_e32 v2, v7
.LBB0_2:                                ; =>This Inner Loop Header: Depth=1
	s_load_dwordx2 s[24:25], s[20:21], 0x0
                                        ; implicit-def: $vgpr3_vgpr4
	s_waitcnt lgkmcnt(0)
	v_or_b32_e32 v9, s25, v11
	v_cmp_ne_u64_e32 vcc, 0, v[8:9]
	s_and_saveexec_b64 s[0:1], vcc
	s_xor_b64 s[26:27], exec, s[0:1]
	s_cbranch_execz .LBB0_4
; %bb.3:                                ;   in Loop: Header=BB0_2 Depth=1
	v_cvt_f32_u32_e32 v3, s24
	v_cvt_f32_u32_e32 v4, s25
	s_sub_u32 s0, 0, s24
	s_subb_u32 s1, 0, s25
	v_mac_f32_e32 v3, 0x4f800000, v4
	v_rcp_f32_e32 v3, v3
	v_mul_f32_e32 v3, 0x5f7ffffc, v3
	v_mul_f32_e32 v4, 0x2f800000, v3
	v_trunc_f32_e32 v4, v4
	v_mac_f32_e32 v3, 0xcf800000, v4
	v_cvt_u32_f32_e32 v4, v4
	v_cvt_u32_f32_e32 v3, v3
	v_mul_lo_u32 v9, s0, v4
	v_mul_hi_u32 v12, s0, v3
	v_mul_lo_u32 v14, s1, v3
	v_mul_lo_u32 v13, s0, v3
	v_add_u32_e32 v9, v12, v9
	v_add_u32_e32 v9, v9, v14
	v_mul_hi_u32 v12, v3, v13
	v_mul_lo_u32 v14, v3, v9
	v_mul_hi_u32 v16, v3, v9
	v_mul_hi_u32 v15, v4, v13
	v_mul_lo_u32 v13, v4, v13
	v_mul_hi_u32 v17, v4, v9
	v_add_co_u32_e32 v12, vcc, v12, v14
	v_addc_co_u32_e32 v14, vcc, 0, v16, vcc
	v_mul_lo_u32 v9, v4, v9
	v_add_co_u32_e32 v12, vcc, v12, v13
	v_addc_co_u32_e32 v12, vcc, v14, v15, vcc
	v_addc_co_u32_e32 v13, vcc, 0, v17, vcc
	v_add_co_u32_e32 v9, vcc, v12, v9
	v_addc_co_u32_e32 v12, vcc, 0, v13, vcc
	v_add_co_u32_e32 v3, vcc, v3, v9
	v_addc_co_u32_e32 v4, vcc, v4, v12, vcc
	v_mul_lo_u32 v9, s0, v4
	v_mul_hi_u32 v12, s0, v3
	v_mul_lo_u32 v13, s1, v3
	v_mul_lo_u32 v14, s0, v3
	v_add_u32_e32 v9, v12, v9
	v_add_u32_e32 v9, v9, v13
	v_mul_lo_u32 v15, v3, v9
	v_mul_hi_u32 v16, v3, v14
	v_mul_hi_u32 v17, v3, v9
	;; [unrolled: 1-line block ×3, first 2 shown]
	v_mul_lo_u32 v14, v4, v14
	v_mul_hi_u32 v12, v4, v9
	v_add_co_u32_e32 v15, vcc, v16, v15
	v_addc_co_u32_e32 v16, vcc, 0, v17, vcc
	v_mul_lo_u32 v9, v4, v9
	v_add_co_u32_e32 v14, vcc, v15, v14
	v_addc_co_u32_e32 v13, vcc, v16, v13, vcc
	v_addc_co_u32_e32 v12, vcc, 0, v12, vcc
	v_add_co_u32_e32 v9, vcc, v13, v9
	v_addc_co_u32_e32 v12, vcc, 0, v12, vcc
	v_add_co_u32_e32 v9, vcc, v3, v9
	v_addc_co_u32_e32 v12, vcc, v4, v12, vcc
	v_mad_u64_u32 v[3:4], s[0:1], v10, v12, 0
	v_mul_hi_u32 v13, v10, v9
	v_add_co_u32_e32 v14, vcc, v13, v3
	v_addc_co_u32_e32 v15, vcc, 0, v4, vcc
	v_mad_u64_u32 v[3:4], s[0:1], v11, v9, 0
	v_mad_u64_u32 v[12:13], s[0:1], v11, v12, 0
	v_add_co_u32_e32 v3, vcc, v14, v3
	v_addc_co_u32_e32 v3, vcc, v15, v4, vcc
	v_addc_co_u32_e32 v4, vcc, 0, v13, vcc
	v_add_co_u32_e32 v9, vcc, v3, v12
	v_addc_co_u32_e32 v12, vcc, 0, v4, vcc
	v_mul_lo_u32 v13, s25, v9
	v_mul_lo_u32 v14, s24, v12
	v_mad_u64_u32 v[3:4], s[0:1], s24, v9, 0
	v_add3_u32 v4, v4, v14, v13
	v_sub_u32_e32 v13, v11, v4
	v_mov_b32_e32 v14, s25
	v_sub_co_u32_e32 v3, vcc, v10, v3
	v_subb_co_u32_e64 v13, s[0:1], v13, v14, vcc
	v_subrev_co_u32_e64 v14, s[0:1], s24, v3
	v_subbrev_co_u32_e64 v13, s[0:1], 0, v13, s[0:1]
	v_cmp_le_u32_e64 s[0:1], s25, v13
	v_cndmask_b32_e64 v15, 0, -1, s[0:1]
	v_cmp_le_u32_e64 s[0:1], s24, v14
	v_cndmask_b32_e64 v14, 0, -1, s[0:1]
	v_cmp_eq_u32_e64 s[0:1], s25, v13
	v_cndmask_b32_e64 v13, v15, v14, s[0:1]
	v_add_co_u32_e64 v14, s[0:1], 2, v9
	v_addc_co_u32_e64 v15, s[0:1], 0, v12, s[0:1]
	v_add_co_u32_e64 v16, s[0:1], 1, v9
	v_addc_co_u32_e64 v17, s[0:1], 0, v12, s[0:1]
	v_subb_co_u32_e32 v4, vcc, v11, v4, vcc
	v_cmp_ne_u32_e64 s[0:1], 0, v13
	v_cmp_le_u32_e32 vcc, s25, v4
	v_cndmask_b32_e64 v13, v17, v15, s[0:1]
	v_cndmask_b32_e64 v15, 0, -1, vcc
	v_cmp_le_u32_e32 vcc, s24, v3
	v_cndmask_b32_e64 v3, 0, -1, vcc
	v_cmp_eq_u32_e32 vcc, s25, v4
	v_cndmask_b32_e32 v3, v15, v3, vcc
	v_cmp_ne_u32_e32 vcc, 0, v3
	v_cndmask_b32_e64 v3, v16, v14, s[0:1]
	v_cndmask_b32_e32 v4, v12, v13, vcc
	v_cndmask_b32_e32 v3, v9, v3, vcc
.LBB0_4:                                ;   in Loop: Header=BB0_2 Depth=1
	s_andn2_saveexec_b64 s[0:1], s[26:27]
	s_cbranch_execz .LBB0_6
; %bb.5:                                ;   in Loop: Header=BB0_2 Depth=1
	v_cvt_f32_u32_e32 v3, s24
	s_sub_i32 s26, 0, s24
	v_rcp_iflag_f32_e32 v3, v3
	v_mul_f32_e32 v3, 0x4f7ffffe, v3
	v_cvt_u32_f32_e32 v3, v3
	v_mul_lo_u32 v4, s26, v3
	v_mul_hi_u32 v4, v3, v4
	v_add_u32_e32 v3, v3, v4
	v_mul_hi_u32 v3, v10, v3
	v_mul_lo_u32 v4, v3, s24
	v_add_u32_e32 v9, 1, v3
	v_sub_u32_e32 v4, v10, v4
	v_subrev_u32_e32 v12, s24, v4
	v_cmp_le_u32_e32 vcc, s24, v4
	v_cndmask_b32_e32 v4, v4, v12, vcc
	v_cndmask_b32_e32 v3, v3, v9, vcc
	v_add_u32_e32 v9, 1, v3
	v_cmp_le_u32_e32 vcc, s24, v4
	v_cndmask_b32_e32 v3, v3, v9, vcc
	v_mov_b32_e32 v4, v8
.LBB0_6:                                ;   in Loop: Header=BB0_2 Depth=1
	s_or_b64 exec, exec, s[0:1]
	v_mul_lo_u32 v9, v4, s24
	v_mul_lo_u32 v14, v3, s25
	v_mad_u64_u32 v[12:13], s[0:1], v3, s24, 0
	s_load_dwordx2 s[0:1], s[6:7], 0x0
	s_load_dwordx2 s[24:25], s[2:3], 0x0
	v_add3_u32 v9, v13, v14, v9
	v_sub_co_u32_e32 v10, vcc, v10, v12
	v_subb_co_u32_e32 v9, vcc, v11, v9, vcc
	s_waitcnt lgkmcnt(0)
	v_mul_lo_u32 v11, s0, v9
	v_mul_lo_u32 v12, s1, v10
	v_mad_u64_u32 v[6:7], s[0:1], s0, v10, v[6:7]
	v_mul_lo_u32 v9, s24, v9
	v_mul_lo_u32 v13, s25, v10
	v_mad_u64_u32 v[1:2], s[0:1], s24, v10, v[1:2]
	s_add_u32 s22, s22, 1
	s_addc_u32 s23, s23, 0
	s_add_u32 s2, s2, 8
	v_add3_u32 v2, v13, v2, v9
	s_addc_u32 s3, s3, 0
	v_mov_b32_e32 v9, s14
	s_add_u32 s6, s6, 8
	v_mov_b32_e32 v10, s15
	s_addc_u32 s7, s7, 0
	v_cmp_ge_u64_e32 vcc, s[22:23], v[9:10]
	s_add_u32 s20, s20, 8
	v_add3_u32 v7, v12, v7, v11
	s_addc_u32 s21, s21, 0
	s_cbranch_vccnz .LBB0_9
; %bb.7:                                ;   in Loop: Header=BB0_2 Depth=1
	v_mov_b32_e32 v11, v4
	v_mov_b32_e32 v10, v3
	s_branch .LBB0_2
.LBB0_8:
	v_mov_b32_e32 v1, v6
	v_mov_b32_e32 v3, v10
	;; [unrolled: 1-line block ×4, first 2 shown]
.LBB0_9:
	s_load_dwordx2 s[2:3], s[4:5], 0x28
	s_lshl_b64 s[6:7], s[14:15], 3
	s_add_u32 s14, s18, s6
	v_and_b32_e32 v5, 1, v5
	s_addc_u32 s15, s19, s7
	s_waitcnt lgkmcnt(0)
	v_cmp_gt_u64_e32 vcc, s[2:3], v[3:4]
	v_cmp_le_u64_e64 s[2:3], s[2:3], v[3:4]
	v_cmp_eq_u32_e64 s[0:1], 1, v5
	v_mov_b32_e32 v5, 0x139
                                        ; implicit-def: $vgpr8
                                        ; implicit-def: $vgpr9_vgpr10
	s_and_saveexec_b64 s[4:5], s[2:3]
	s_xor_b64 s[2:3], exec, s[4:5]
; %bb.10:
	s_mov_b32 s4, 0x9d89d8a
	v_mul_hi_u32 v6, v0, s4
	v_mov_b32_e32 v9, 0
	v_mul_u32_u24_e32 v6, 26, v6
	v_sub_u32_e32 v8, v0, v6
	v_mov_b32_e32 v10, v9
	v_mov_b32_e32 v9, v8
                                        ; implicit-def: $vgpr0
                                        ; implicit-def: $vgpr6_vgpr7
; %bb.11:
	s_or_saveexec_b64 s[4:5], s[2:3]
	s_load_dwordx2 s[2:3], s[14:15], 0x0
	v_cndmask_b32_e64 v12, 0, v5, s[0:1]
	v_lshlrev_b32_e32 v25, 2, v12
                                        ; implicit-def: $vgpr5
	s_xor_b64 exec, exec, s[4:5]
	s_cbranch_execz .LBB0_15
; %bb.12:
	s_add_u32 s0, s16, s6
	s_addc_u32 s1, s17, s7
	s_load_dwordx2 s[0:1], s[0:1], 0x0
	s_mov_b32 s6, 0x9d89d8a
	v_mul_hi_u32 v5, v0, s6
	s_waitcnt lgkmcnt(0)
	v_mul_lo_u32 v11, s1, v3
	v_mul_lo_u32 v13, s0, v4
	v_mad_u64_u32 v[9:10], s[0:1], s0, v3, 0
	v_mul_u32_u24_e32 v5, 26, v5
	v_sub_u32_e32 v8, v0, v5
	v_add3_u32 v10, v10, v13, v11
	v_lshlrev_b64 v[9:10], 2, v[9:10]
	v_mov_b32_e32 v0, s9
	v_add_co_u32_e64 v9, s[0:1], s8, v9
	v_lshlrev_b64 v[5:6], 2, v[6:7]
	v_addc_co_u32_e64 v0, s[0:1], v0, v10, s[0:1]
	v_add_co_u32_e64 v5, s[0:1], v9, v5
	v_addc_co_u32_e64 v6, s[0:1], v0, v6, s[0:1]
	v_lshlrev_b32_e32 v0, 2, v8
	v_add_co_u32_e64 v9, s[0:1], v5, v0
	v_addc_co_u32_e64 v10, s[0:1], 0, v6, s[0:1]
	global_load_dword v7, v[9:10], off
	global_load_dword v11, v[9:10], off offset:104
	global_load_dword v13, v[9:10], off offset:208
	;; [unrolled: 1-line block ×11, first 2 shown]
	v_add3_u32 v0, 0, v25, v0
	v_mov_b32_e32 v9, 0
	v_add_u32_e32 v10, 0x400, v0
	v_cmp_eq_u32_e64 s[0:1], 25, v8
	s_waitcnt vmcnt(10)
	ds_write2_b32 v0, v7, v11 offset1:26
	s_waitcnt vmcnt(8)
	ds_write2_b32 v0, v13, v14 offset0:52 offset1:78
	s_waitcnt vmcnt(6)
	ds_write2_b32 v0, v15, v16 offset0:104 offset1:130
	;; [unrolled: 2-line block ×5, first 2 shown]
	v_mov_b32_e32 v10, v9
	v_mov_b32_e32 v9, v8
	s_and_saveexec_b64 s[6:7], s[0:1]
	s_cbranch_execz .LBB0_14
; %bb.13:
	global_load_dword v5, v[5:6], off offset:1248
	v_mov_b32_e32 v9, 25
	v_mov_b32_e32 v10, 0
	;; [unrolled: 1-line block ×3, first 2 shown]
	s_waitcnt vmcnt(0)
	ds_write_b32 v0, v5 offset:1148
.LBB0_14:
	s_or_b64 exec, exec, s[6:7]
	v_mov_b32_e32 v5, v8
.LBB0_15:
	s_or_b64 exec, exec, s[4:5]
	v_lshl_add_u32 v0, v12, 2, 0
	v_lshlrev_b32_e32 v6, 2, v8
	v_add_u32_e32 v24, v0, v6
	s_waitcnt lgkmcnt(0)
	; wave barrier
	s_waitcnt lgkmcnt(0)
	v_sub_u32_e32 v13, v0, v6
	ds_read_u16 v11, v24
	ds_read_u16 v16, v13 offset:1248
	v_lshlrev_b64 v[6:7], 2, v[9:10]
	v_cmp_ne_u32_e64 s[0:1], 0, v8
	s_waitcnt lgkmcnt(0)
	v_add_f16_e32 v14, v16, v11
	v_sub_f16_e32 v15, v11, v16
	s_and_saveexec_b64 s[4:5], s[0:1]
	s_xor_b64 s[4:5], exec, s[4:5]
	s_cbranch_execz .LBB0_17
; %bb.16:
	v_mov_b32_e32 v10, s13
	v_add_co_u32_e64 v9, s[0:1], s12, v6
	v_addc_co_u32_e64 v10, s[0:1], v10, v7, s[0:1]
	global_load_dword v9, v[9:10], off offset:1196
	ds_read_u16 v10, v13 offset:1250
	ds_read_u16 v14, v24 offset:2
	v_add_f16_e32 v15, v16, v11
	v_sub_f16_e32 v11, v11, v16
	s_waitcnt lgkmcnt(0)
	v_add_f16_e32 v16, v10, v14
	v_sub_f16_e32 v10, v14, v10
	s_waitcnt vmcnt(0)
	v_lshrrev_b32_e32 v14, 16, v9
	v_fma_f16 v17, v11, v14, v15
	v_fma_f16 v18, v16, v14, v10
	v_fma_f16 v19, -v11, v14, v15
	v_fma_f16 v10, v16, v14, -v10
	v_fma_f16 v14, -v9, v16, v17
	v_fma_f16 v15, v11, v9, v18
	v_fma_f16 v16, v9, v16, v19
	;; [unrolled: 1-line block ×3, first 2 shown]
	v_pack_b32_f16 v9, v16, v9
	ds_write_b32 v13, v9 offset:1248
.LBB0_17:
	s_andn2_saveexec_b64 s[0:1], s[4:5]
	s_cbranch_execz .LBB0_19
; %bb.18:
	ds_read_b32 v9, v0 offset:624
	s_mov_b32 s4, 0xc0004000
	s_waitcnt lgkmcnt(0)
	v_pk_mul_f16 v9, v9, s4
	ds_write_b32 v0, v9 offset:624
.LBB0_19:
	s_or_b64 exec, exec, s[0:1]
	v_mov_b32_e32 v9, 0
	s_add_u32 s0, s12, 0x4ac
	v_lshlrev_b64 v[10:11], 2, v[8:9]
	s_addc_u32 s1, s13, 0
	v_mov_b32_e32 v17, s1
	v_add_co_u32_e64 v16, s[0:1], s0, v10
	v_addc_co_u32_e64 v17, s[0:1], v17, v11, s[0:1]
	global_load_dword v18, v[16:17], off offset:104
	global_load_dword v19, v[16:17], off offset:208
	;; [unrolled: 1-line block ×4, first 2 shown]
	s_mov_b32 s0, 0x5040100
	v_perm_b32 v14, v15, v14, s0
	ds_write_b32 v24, v14
	ds_read_b32 v14, v24 offset:104
	ds_read_b32 v15, v13 offset:1144
	global_load_dword v16, v[16:17], off offset:520
	v_cmp_gt_u32_e64 s[0:1], 24, v8
	s_waitcnt lgkmcnt(0)
	v_add_f16_e32 v17, v14, v15
	v_add_f16_sdwa v22, v15, v14 dst_sel:DWORD dst_unused:UNUSED_PAD src0_sel:WORD_1 src1_sel:WORD_1
	v_sub_f16_e32 v23, v14, v15
	v_sub_f16_sdwa v14, v14, v15 dst_sel:DWORD dst_unused:UNUSED_PAD src0_sel:WORD_1 src1_sel:WORD_1
	s_waitcnt vmcnt(4)
	v_lshrrev_b32_e32 v15, 16, v18
	v_fma_f16 v26, v23, v15, v17
	v_fma_f16 v27, v22, v15, v14
	v_fma_f16 v17, -v23, v15, v17
	v_fma_f16 v14, v22, v15, -v14
	v_fma_f16 v15, -v18, v22, v26
	v_fma_f16 v26, v23, v18, v27
	v_fma_f16 v17, v18, v22, v17
	;; [unrolled: 1-line block ×3, first 2 shown]
	v_pack_b32_f16 v15, v15, v26
	v_pack_b32_f16 v14, v17, v14
	ds_write_b32 v24, v15 offset:104
	ds_write_b32 v13, v14 offset:1144
	ds_read_b32 v14, v24 offset:208
	ds_read_b32 v15, v13 offset:1040
	s_waitcnt vmcnt(3)
	v_lshrrev_b32_e32 v17, 16, v19
	v_lshl_add_u32 v27, v8, 2, 0
	s_waitcnt lgkmcnt(0)
	v_add_f16_e32 v18, v14, v15
	v_add_f16_sdwa v22, v15, v14 dst_sel:DWORD dst_unused:UNUSED_PAD src0_sel:WORD_1 src1_sel:WORD_1
	v_sub_f16_e32 v23, v14, v15
	v_sub_f16_sdwa v14, v14, v15 dst_sel:DWORD dst_unused:UNUSED_PAD src0_sel:WORD_1 src1_sel:WORD_1
	v_fma_f16 v15, v23, v17, v18
	v_fma_f16 v26, v22, v17, v14
	v_fma_f16 v18, -v23, v17, v18
	v_fma_f16 v14, v22, v17, -v14
	v_fma_f16 v15, -v19, v22, v15
	v_fma_f16 v17, v23, v19, v26
	v_fma_f16 v18, v19, v22, v18
	;; [unrolled: 1-line block ×3, first 2 shown]
	v_pack_b32_f16 v15, v15, v17
	v_pack_b32_f16 v14, v18, v14
	ds_write_b32 v24, v15 offset:208
	ds_write_b32 v13, v14 offset:1040
	ds_read_b32 v14, v24 offset:312
	ds_read_b32 v15, v13 offset:936
	s_waitcnt vmcnt(2)
	v_lshrrev_b32_e32 v17, 16, v20
	v_lshl_add_u32 v26, v12, 2, v27
	s_waitcnt vmcnt(0)
	v_lshrrev_b32_e32 v12, 16, v16
	s_waitcnt lgkmcnt(0)
	v_add_f16_e32 v18, v14, v15
	v_add_f16_sdwa v19, v15, v14 dst_sel:DWORD dst_unused:UNUSED_PAD src0_sel:WORD_1 src1_sel:WORD_1
	v_sub_f16_e32 v22, v14, v15
	v_sub_f16_sdwa v14, v14, v15 dst_sel:DWORD dst_unused:UNUSED_PAD src0_sel:WORD_1 src1_sel:WORD_1
	v_fma_f16 v15, v22, v17, v18
	v_fma_f16 v23, v19, v17, v14
	v_fma_f16 v18, -v22, v17, v18
	v_fma_f16 v14, v19, v17, -v14
	v_fma_f16 v15, -v20, v19, v15
	v_fma_f16 v17, v22, v20, v23
	v_fma_f16 v18, v20, v19, v18
	;; [unrolled: 1-line block ×3, first 2 shown]
	v_pack_b32_f16 v15, v15, v17
	v_pack_b32_f16 v14, v18, v14
	ds_write_b32 v24, v15 offset:312
	ds_write_b32 v13, v14 offset:936
	ds_read_b32 v14, v24 offset:416
	ds_read_b32 v15, v13 offset:832
	v_lshrrev_b32_e32 v17, 16, v21
	s_waitcnt lgkmcnt(0)
	v_add_f16_e32 v18, v14, v15
	v_add_f16_sdwa v19, v15, v14 dst_sel:DWORD dst_unused:UNUSED_PAD src0_sel:WORD_1 src1_sel:WORD_1
	v_sub_f16_e32 v20, v14, v15
	v_sub_f16_sdwa v14, v14, v15 dst_sel:DWORD dst_unused:UNUSED_PAD src0_sel:WORD_1 src1_sel:WORD_1
	v_fma_f16 v15, v20, v17, v18
	v_fma_f16 v22, v19, v17, v14
	v_fma_f16 v18, -v20, v17, v18
	v_fma_f16 v14, v19, v17, -v14
	v_fma_f16 v15, -v21, v19, v15
	v_fma_f16 v17, v20, v21, v22
	v_fma_f16 v18, v21, v19, v18
	;; [unrolled: 1-line block ×3, first 2 shown]
	v_pack_b32_f16 v15, v15, v17
	v_pack_b32_f16 v14, v18, v14
	ds_write_b32 v24, v15 offset:416
	ds_write_b32 v13, v14 offset:832
	ds_read_b32 v14, v24 offset:520
	ds_read_b32 v15, v13 offset:728
	v_add_u32_e32 v22, 0x400, v26
	s_waitcnt lgkmcnt(0)
	v_add_f16_e32 v17, v14, v15
	v_add_f16_sdwa v18, v15, v14 dst_sel:DWORD dst_unused:UNUSED_PAD src0_sel:WORD_1 src1_sel:WORD_1
	v_sub_f16_e32 v19, v14, v15
	v_sub_f16_sdwa v14, v14, v15 dst_sel:DWORD dst_unused:UNUSED_PAD src0_sel:WORD_1 src1_sel:WORD_1
	v_fma_f16 v15, v19, v12, v17
	v_fma_f16 v20, v18, v12, v14
	v_fma_f16 v17, -v19, v12, v17
	v_fma_f16 v12, v18, v12, -v14
	v_fma_f16 v14, -v16, v18, v15
	v_fma_f16 v15, v19, v16, v20
	v_fma_f16 v17, v16, v18, v17
	;; [unrolled: 1-line block ×3, first 2 shown]
	v_pack_b32_f16 v14, v14, v15
	v_pack_b32_f16 v12, v17, v12
	ds_write_b32 v24, v14 offset:520
	ds_write_b32 v13, v12 offset:728
	s_waitcnt lgkmcnt(0)
	; wave barrier
	s_waitcnt lgkmcnt(0)
	s_waitcnt lgkmcnt(0)
	; wave barrier
	s_waitcnt lgkmcnt(0)
	ds_read_b32 v28, v24
	ds_read2_b32 v[20:21], v26 offset0:24 offset1:48
	ds_read2_b32 v[16:17], v26 offset0:72 offset1:96
	;; [unrolled: 1-line block ×6, first 2 shown]
	s_waitcnt lgkmcnt(0)
	; wave barrier
	s_waitcnt lgkmcnt(0)
	s_and_saveexec_b64 s[4:5], s[0:1]
	s_cbranch_execz .LBB0_21
; %bb.20:
	v_pk_add_f16 v29, v28, v20
	v_pk_add_f16 v29, v29, v21
	;; [unrolled: 1-line block ×13, first 2 shown]
	s_movk_i32 s0, 0x388b
	v_mul_f16_sdwa v31, v29, s0 dst_sel:DWORD dst_unused:UNUSED_PAD src0_sel:WORD_1 src1_sel:DWORD
	v_pk_add_f16 v20, v20, v23 neg_lo:[0,1] neg_hi:[0,1]
	v_pk_add_f16 v23, v22, v21
	s_mov_b32 s1, 0xb5ac
	s_mov_b32 s18, 0xba95
	v_mul_f16_sdwa v32, v23, s1 dst_sel:DWORD dst_unused:UNUSED_PAD src0_sel:WORD_1 src1_sel:DWORD
	v_pk_add_f16 v21, v21, v22 neg_lo:[0,1] neg_hi:[0,1]
	v_pk_add_f16 v22, v19, v16
	s_mov_b32 s7, 0xbbc4
	s_mov_b32 s15, 0xbb7b
	v_fma_f16 v38, v20, s18, v31
	v_mul_f16_sdwa v33, v22, s7 dst_sel:DWORD dst_unused:UNUSED_PAD src0_sel:WORD_1 src1_sel:DWORD
	v_pk_add_f16 v16, v16, v19 neg_lo:[0,1] neg_hi:[0,1]
	v_pk_add_f16 v19, v18, v17
	s_mov_b32 s8, 0xb9fd
	s_mov_b32 s16, 0xb3a8
	v_add_f16_sdwa v38, v28, v38 dst_sel:DWORD dst_unused:UNUSED_PAD src0_sel:WORD_1 src1_sel:DWORD
	v_fma_f16 v39, v21, s15, v32
	v_mul_f16_sdwa v34, v19, s8 dst_sel:DWORD dst_unused:UNUSED_PAD src0_sel:WORD_1 src1_sel:DWORD
	v_pk_add_f16 v17, v17, v18 neg_lo:[0,1] neg_hi:[0,1]
	v_pk_add_f16 v18, v15, v12
	s_movk_i32 s6, 0x2fb7
	s_mov_b32 s14, 0x3b15388b
	s_movk_i32 s19, 0x394e
	v_add_f16_e32 v38, v39, v38
	v_fma_f16 v39, v16, s16, v33
	v_mul_f16_sdwa v35, v18, s6 dst_sel:DWORD dst_unused:UNUSED_PAD src0_sel:WORD_1 src1_sel:DWORD
	v_pk_add_f16 v12, v12, v15 neg_lo:[0,1] neg_hi:[0,1]
	v_pk_add_f16 v15, v14, v13
	s_movk_i32 s9, 0x3b15
	v_pk_add_f16 v13, v13, v14 neg_lo:[0,1] neg_hi:[0,1]
	v_pk_mul_f16 v14, v29, s14
	s_movk_i32 s14, 0x3bf1
	v_add_f16_e32 v38, v39, v38
	v_fma_f16 v39, v17, s19, v34
	v_mul_f16_sdwa v36, v15, s9 dst_sel:DWORD dst_unused:UNUSED_PAD src0_sel:WORD_1 src1_sel:DWORD
	s_mov_b32 s20, 0xba95b770
	s_mov_b32 s22, 0x388bb5ac
	s_movk_i32 s17, 0x3770
	v_add_f16_e32 v38, v39, v38
	v_fma_f16 v39, v12, s14, v35
	v_pk_fma_f16 v37, v20, s20, v14 op_sel:[0,0,1] op_sel_hi:[1,1,0]
	s_mov_b32 s21, 0xbb7bba95
	v_add_f16_e32 v38, v39, v38
	v_fma_f16 v39, v13, s17, v36
	v_pk_fma_f16 v14, v20, s20, v14 op_sel:[0,0,1] op_sel_hi:[1,1,0] neg_lo:[1,0,0] neg_hi:[1,0,0]
	s_mov_b32 s20, 0xffff
	v_pk_mul_f16 v40, v23, s22
	v_add_f16_e32 v38, v39, v38
	v_bfi_b32 v39, s20, v37, v14
	v_pk_fma_f16 v41, v21, s21, v40 op_sel:[0,0,1] op_sel_hi:[1,1,0]
	v_pk_fma_f16 v40, v21, s21, v40 op_sel:[0,0,1] op_sel_hi:[1,1,0] neg_lo:[1,0,0] neg_hi:[1,0,0]
	v_pk_add_f16 v39, v28, v39 op_sel:[1,0] op_sel_hi:[0,1]
	v_bfi_b32 v42, s20, v41, v40
	s_mov_b32 s22, 0x2fb7bbc4
	v_pk_add_f16 v39, v42, v39
	s_mov_b32 s21, 0xb3a8bbf1
	v_pk_mul_f16 v42, v22, s22
	v_pk_fma_f16 v43, v16, s21, v42 op_sel:[0,0,1] op_sel_hi:[1,1,0]
	v_pk_fma_f16 v42, v16, s21, v42 op_sel:[0,0,1] op_sel_hi:[1,1,0] neg_lo:[1,0,0] neg_hi:[1,0,0]
	v_bfi_b32 v44, s20, v43, v42
	s_mov_b32 s22, 0xb5acb9fd
	v_pk_add_f16 v39, v44, v39
	s_mov_b32 s21, 0x394ebb7b
	v_pk_mul_f16 v44, v19, s22
	v_pk_fma_f16 v45, v17, s21, v44 op_sel:[0,0,1] op_sel_hi:[1,1,0]
	v_pk_fma_f16 v44, v17, s21, v44 op_sel:[0,0,1] op_sel_hi:[1,1,0] neg_lo:[1,0,0] neg_hi:[1,0,0]
	;; [unrolled: 7-line block ×4, first 2 shown]
	v_bfi_b32 v49, s20, v49, v50
	s_mov_b32 s24, 0xb770
	v_pk_add_f16 v39, v49, v39
	v_mul_f16_sdwa v49, v20, s24 dst_sel:DWORD dst_unused:UNUSED_PAD src0_sel:WORD_1 src1_sel:DWORD
	v_fma_f16 v51, v29, s9, -v49
	v_mul_f16_sdwa v52, v21, s18 dst_sel:DWORD dst_unused:UNUSED_PAD src0_sel:WORD_1 src1_sel:DWORD
	v_add_f16_e32 v51, v28, v51
	v_fma_f16 v53, v23, s0, -v52
	s_mov_b32 s25, 0xbbf1
	v_add_f16_e32 v51, v53, v51
	v_mul_f16_sdwa v53, v16, s25 dst_sel:DWORD dst_unused:UNUSED_PAD src0_sel:WORD_1 src1_sel:DWORD
	v_fma_f16 v54, v22, s6, -v53
	v_add_f16_e32 v51, v54, v51
	v_mul_f16_sdwa v54, v17, s15 dst_sel:DWORD dst_unused:UNUSED_PAD src0_sel:WORD_1 src1_sel:DWORD
	v_fma_f16 v55, v19, s1, -v54
	s_mov_b32 s22, 0xb94e
	v_add_f16_e32 v51, v55, v51
	v_mul_f16_sdwa v55, v12, s22 dst_sel:DWORD dst_unused:UNUSED_PAD src0_sel:WORD_1 src1_sel:DWORD
	v_fma_f16 v56, v18, s8, -v55
	v_add_f16_e32 v51, v56, v51
	v_mul_f16_sdwa v56, v13, s16 dst_sel:DWORD dst_unused:UNUSED_PAD src0_sel:WORD_1 src1_sel:DWORD
	v_fma_f16 v57, v15, s7, -v56
	v_add_f16_e32 v51, v57, v51
	v_alignbit_b32 v38, v38, v39, 16
	v_pack_b32_f16 v39, v51, v39
	v_mul_u32_u24_e32 v51, 48, v8
	v_add3_u32 v51, v27, v51, v25
	ds_write2_b32 v51, v39, v38 offset0:1 offset1:2
	v_mul_f16_sdwa v38, v29, s1 dst_sel:DWORD dst_unused:UNUSED_PAD src0_sel:WORD_1 src1_sel:DWORD
	v_fma_f16 v39, v20, s15, v38
	v_mul_f16_sdwa v57, v23, s8 dst_sel:DWORD dst_unused:UNUSED_PAD src0_sel:WORD_1 src1_sel:DWORD
	v_add_f16_sdwa v39, v28, v39 dst_sel:DWORD dst_unused:UNUSED_PAD src0_sel:WORD_1 src1_sel:DWORD
	v_fma_f16 v58, v21, s19, v57
	v_add_f16_e32 v39, v58, v39
	v_mul_f16_sdwa v58, v22, s9 dst_sel:DWORD dst_unused:UNUSED_PAD src0_sel:WORD_1 src1_sel:DWORD
	v_fma_f16 v59, v16, s17, v58
	v_add_f16_e32 v39, v59, v39
	v_mul_f16_sdwa v59, v19, s6 dst_sel:DWORD dst_unused:UNUSED_PAD src0_sel:WORD_1 src1_sel:DWORD
	v_fma_f16 v60, v17, s25, v59
	v_add_f16_e32 v39, v60, v39
	s_movk_i32 s26, 0x33a8
	v_mul_f16_sdwa v60, v18, s7 dst_sel:DWORD dst_unused:UNUSED_PAD src0_sel:WORD_1 src1_sel:DWORD
	v_fma_f16 v61, v12, s26, v60
	v_add_f16_e32 v39, v61, v39
	s_movk_i32 s23, 0x3a95
	v_mul_f16_sdwa v61, v15, s0 dst_sel:DWORD dst_unused:UNUSED_PAD src0_sel:WORD_1 src1_sel:DWORD
	v_fma_f16 v62, v13, s23, v61
	v_add_f16_e32 v39, v62, v39
	v_mul_f16_sdwa v62, v20, s15 dst_sel:DWORD dst_unused:UNUSED_PAD src0_sel:WORD_1 src1_sel:DWORD
	v_fma_f16 v63, v29, s1, -v62
	v_mul_f16_sdwa v64, v21, s19 dst_sel:DWORD dst_unused:UNUSED_PAD src0_sel:WORD_1 src1_sel:DWORD
	v_add_f16_e32 v63, v28, v63
	v_fma_f16 v65, v23, s8, -v64
	v_add_f16_e32 v63, v65, v63
	v_mul_f16_sdwa v65, v16, s17 dst_sel:DWORD dst_unused:UNUSED_PAD src0_sel:WORD_1 src1_sel:DWORD
	v_fma_f16 v66, v22, s9, -v65
	v_add_f16_e32 v63, v66, v63
	v_mul_f16_sdwa v66, v17, s25 dst_sel:DWORD dst_unused:UNUSED_PAD src0_sel:WORD_1 src1_sel:DWORD
	;; [unrolled: 3-line block ×5, first 2 shown]
	v_fma_f16 v70, v20, s25, v69
	v_mul_f16_sdwa v71, v23, s7 dst_sel:DWORD dst_unused:UNUSED_PAD src0_sel:WORD_1 src1_sel:DWORD
	v_add_f16_sdwa v70, v28, v70 dst_sel:DWORD dst_unused:UNUSED_PAD src0_sel:WORD_1 src1_sel:DWORD
	v_fma_f16 v72, v21, s16, v71
	v_add_f16_e32 v70, v72, v70
	s_movk_i32 s27, 0x3b7b
	v_mul_f16_sdwa v72, v22, s1 dst_sel:DWORD dst_unused:UNUSED_PAD src0_sel:WORD_1 src1_sel:DWORD
	v_fma_f16 v73, v16, s27, v72
	v_add_f16_e32 v70, v73, v70
	v_mul_f16_sdwa v73, v19, s9 dst_sel:DWORD dst_unused:UNUSED_PAD src0_sel:WORD_1 src1_sel:DWORD
	v_fma_f16 v74, v17, s17, v73
	v_add_f16_e32 v70, v74, v70
	v_mul_f16_sdwa v74, v18, s0 dst_sel:DWORD dst_unused:UNUSED_PAD src0_sel:WORD_1 src1_sel:DWORD
	v_fma_f16 v75, v12, s18, v74
	v_add_f16_e32 v70, v75, v70
	v_mul_f16_sdwa v75, v15, s8 dst_sel:DWORD dst_unused:UNUSED_PAD src0_sel:WORD_1 src1_sel:DWORD
	v_fma_f16 v76, v13, s22, v75
	v_add_f16_e32 v70, v76, v70
	v_mul_f16_sdwa v76, v20, s25 dst_sel:DWORD dst_unused:UNUSED_PAD src0_sel:WORD_1 src1_sel:DWORD
	v_fma_f16 v77, v29, s6, -v76
	v_mul_f16_sdwa v78, v21, s16 dst_sel:DWORD dst_unused:UNUSED_PAD src0_sel:WORD_1 src1_sel:DWORD
	v_add_f16_e32 v77, v28, v77
	v_fma_f16 v79, v23, s7, -v78
	v_add_f16_e32 v77, v79, v77
	v_mul_f16_sdwa v79, v16, s27 dst_sel:DWORD dst_unused:UNUSED_PAD src0_sel:WORD_1 src1_sel:DWORD
	v_fma_f16 v80, v22, s1, -v79
	v_add_f16_e32 v77, v80, v77
	v_mul_f16_sdwa v80, v17, s17 dst_sel:DWORD dst_unused:UNUSED_PAD src0_sel:WORD_1 src1_sel:DWORD
	;; [unrolled: 3-line block ×4, first 2 shown]
	v_fma_f16 v83, v15, s8, -v82
	v_add_f16_e32 v77, v83, v77
	v_pack_b32_f16 v39, v63, v39
	v_pack_b32_f16 v63, v77, v70
	ds_write2_b32 v51, v63, v39 offset0:3 offset1:4
	v_mul_f16_sdwa v39, v29, s8 dst_sel:DWORD dst_unused:UNUSED_PAD src0_sel:WORD_1 src1_sel:DWORD
	v_fma_f16 v63, v20, s22, v39
	v_mul_f16_sdwa v70, v23, s6 dst_sel:DWORD dst_unused:UNUSED_PAD src0_sel:WORD_1 src1_sel:DWORD
	v_add_f16_sdwa v63, v28, v63 dst_sel:DWORD dst_unused:UNUSED_PAD src0_sel:WORD_1 src1_sel:DWORD
	v_fma_f16 v77, v21, s14, v70
	v_add_f16_e32 v63, v77, v63
	v_mul_f16_sdwa v77, v22, s0 dst_sel:DWORD dst_unused:UNUSED_PAD src0_sel:WORD_1 src1_sel:DWORD
	v_fma_f16 v83, v16, s18, v77
	v_add_f16_e32 v63, v83, v63
	v_mul_f16_sdwa v83, v19, s7 dst_sel:DWORD dst_unused:UNUSED_PAD src0_sel:WORD_1 src1_sel:DWORD
	;; [unrolled: 3-line block ×5, first 2 shown]
	v_fma_f16 v87, v29, s8, -v86
	v_mul_f16_sdwa v88, v21, s14 dst_sel:DWORD dst_unused:UNUSED_PAD src0_sel:WORD_1 src1_sel:DWORD
	v_add_f16_e32 v87, v28, v87
	v_fma_f16 v89, v23, s6, -v88
	v_add_f16_e32 v87, v89, v87
	v_mul_f16_sdwa v89, v16, s18 dst_sel:DWORD dst_unused:UNUSED_PAD src0_sel:WORD_1 src1_sel:DWORD
	v_fma_f16 v90, v22, s0, -v89
	v_add_f16_e32 v87, v90, v87
	v_mul_f16_sdwa v90, v17, s26 dst_sel:DWORD dst_unused:UNUSED_PAD src0_sel:WORD_1 src1_sel:DWORD
	;; [unrolled: 3-line block ×4, first 2 shown]
	v_fma_f16 v93, v15, s1, -v92
	v_add_f16_e32 v87, v93, v87
	v_pack_b32_f16 v63, v87, v63
	ds_write2_b32 v51, v30, v63 offset1:5
	v_fma_f16 v30, v20, s23, v31
	v_add_f16_sdwa v30, v28, v30 dst_sel:DWORD dst_unused:UNUSED_PAD src0_sel:WORD_1 src1_sel:DWORD
	v_fma_f16 v31, v21, s27, v32
	v_fma_f16 v32, v20, s14, v69
	v_add_f16_e32 v30, v31, v30
	v_fma_f16 v31, v16, s26, v33
	v_add_f16_sdwa v32, v28, v32 dst_sel:DWORD dst_unused:UNUSED_PAD src0_sel:WORD_1 src1_sel:DWORD
	v_fma_f16 v33, v21, s26, v71
	v_add_f16_e32 v32, v33, v32
	v_fma_f16 v33, v16, s15, v72
	v_add_f16_e32 v32, v33, v32
	;; [unrolled: 2-line block ×11, first 2 shown]
	v_fma_f16 v31, v12, s25, v35
	v_add_f16_sdwa v34, v28, v34 dst_sel:DWORD dst_unused:UNUSED_PAD src0_sel:WORD_1 src1_sel:DWORD
	v_fma_f16 v35, v21, s22, v57
	v_add_f16_e32 v34, v35, v34
	v_fma_f16 v35, v16, s24, v58
	v_add_f16_e32 v34, v35, v34
	;; [unrolled: 2-line block ×13, first 2 shown]
	v_pk_add_f16 v31, v28, v37 op_sel:[1,0] op_sel_hi:[0,1]
	v_add_f16_sdwa v36, v28, v36 dst_sel:DWORD dst_unused:UNUSED_PAD src0_sel:WORD_1 src1_sel:DWORD
	v_fma_f16 v37, v21, s25, v70
	v_add_f16_e32 v36, v37, v36
	v_fma_f16 v37, v16, s23, v77
	v_add_f16_e32 v36, v37, v36
	;; [unrolled: 2-line block ×16, first 2 shown]
	v_fma_f16 v39, v15, s7, v56
	v_pk_mul_f16 v29, v29, s7 op_sel_hi:[1,0]
	v_add_f16_sdwa v14, v28, v14 dst_sel:DWORD dst_unused:UNUSED_PAD src0_sel:WORD_1 src1_sel:DWORD
	v_add_f16_e32 v38, v39, v38
	v_pk_fma_f16 v39, v20, s16, v29 op_sel:[0,0,1] op_sel_hi:[1,0,0] neg_lo:[1,0,0] neg_hi:[1,0,0]
	v_pk_mul_f16 v23, v23, s9 op_sel_hi:[1,0]
	v_pk_fma_f16 v20, v20, s16, v29 op_sel:[0,0,1] op_sel_hi:[1,0,0]
	v_add_f16_e32 v14, v40, v14
	v_pk_add_f16 v39, v28, v39 op_sel:[1,0] op_sel_hi:[0,1]
	v_pk_fma_f16 v40, v21, s17, v23 op_sel:[0,0,1] op_sel_hi:[1,0,0] neg_lo:[1,0,0] neg_hi:[1,0,0]
	v_pk_mul_f16 v22, v22, s8 op_sel_hi:[1,0]
	v_pk_add_f16 v20, v28, v20 op_sel:[1,0] op_sel_hi:[0,1]
	v_pk_fma_f16 v21, v21, s17, v23 op_sel:[0,0,1] op_sel_hi:[1,0,0]
	v_pk_add_f16 v39, v40, v39
	v_pk_fma_f16 v40, v16, s22, v22 op_sel:[0,0,1] op_sel_hi:[1,0,0] neg_lo:[1,0,0] neg_hi:[1,0,0]
	v_pk_mul_f16 v19, v19, s0 op_sel_hi:[1,0]
	v_pk_add_f16 v20, v21, v20
	v_pk_fma_f16 v16, v16, s22, v22 op_sel:[0,0,1] op_sel_hi:[1,0,0]
	v_pk_add_f16 v39, v40, v39
	v_pk_fma_f16 v40, v17, s23, v19 op_sel:[0,0,1] op_sel_hi:[1,0,0] neg_lo:[1,0,0] neg_hi:[1,0,0]
	v_pk_mul_f16 v18, v18, s1 op_sel_hi:[1,0]
	v_pk_add_f16 v16, v16, v20
	v_pk_fma_f16 v17, v17, s23, v19 op_sel:[0,0,1] op_sel_hi:[1,0,0]
	v_pk_add_f16 v39, v40, v39
	v_pk_fma_f16 v40, v12, s15, v18 op_sel:[0,0,1] op_sel_hi:[1,0,0] neg_lo:[1,0,0] neg_hi:[1,0,0]
	v_pk_mul_f16 v15, v15, s6 op_sel_hi:[1,0]
	v_fma_f16 v21, v12, s23, v74
	v_pk_add_f16 v16, v17, v16
	v_pk_fma_f16 v12, v12, s15, v18 op_sel:[0,0,1] op_sel_hi:[1,0,0]
	v_pk_add_f16 v39, v40, v39
	v_pk_fma_f16 v40, v13, s14, v15 op_sel:[0,0,1] op_sel_hi:[1,0,0] neg_lo:[1,0,0] neg_hi:[1,0,0]
	v_pk_mul_f16 v20, v13, s21
	v_mul_f16_e32 v19, 0xb94e, v13
	v_pk_add_f16 v12, v12, v16
	v_pk_fma_f16 v13, v13, s14, v15 op_sel:[0,0,1] op_sel_hi:[1,0,0]
	v_pk_add_f16 v39, v40, v39
	v_pk_add_f16 v12, v13, v12
	;; [unrolled: 1-line block ×3, first 2 shown]
	v_alignbit_b32 v13, v39, v12, 16
	v_alignbit_b32 v12, v12, v39, 16
	v_pk_add_f16 v31, v43, v31
	ds_write2_b32 v51, v12, v13 offset0:6 offset1:7
	v_pack_b32_f16 v12, v35, v34
	v_pack_b32_f16 v13, v37, v36
	v_pk_add_f16 v31, v45, v31
	ds_write2_b32 v51, v13, v12 offset0:8 offset1:9
	v_pack_b32_f16 v12, v21, v48
	v_bfi_b32 v13, s20, v32, v20
	v_pk_add_f16 v12, v12, v13
	v_bfi_b32 v13, s20, v19, v31
	v_add_f16_e32 v14, v42, v14
	v_pk_add_f16 v13, v75, v13 neg_lo:[0,1] neg_hi:[0,1]
	v_pk_add_f16 v15, v47, v31
	v_add_f16_e32 v14, v44, v14
	v_bfi_b32 v13, s20, v13, v15
	v_add_f16_e32 v14, v46, v14
	v_pk_add_f16 v12, v13, v12
	v_add_f16_e32 v14, v50, v14
	v_alignbit_b32 v13, v30, v12, 16
	v_pack_b32_f16 v12, v33, v12
	ds_write2_b32 v51, v12, v13 offset0:10 offset1:11
	v_pack_b32_f16 v12, v38, v14
	ds_write_b32 v51, v12 offset:48
.LBB0_21:
	s_or_b64 exec, exec, s[4:5]
	v_add_u32_e32 v12, -13, v8
	v_cmp_gt_u32_e64 s[0:1], 13, v8
	v_cndmask_b32_e64 v23, v12, v8, s[0:1]
	v_mul_i32_i24_e32 v12, 3, v23
	v_mov_b32_e32 v13, v9
	v_lshlrev_b64 v[12:13], 2, v[12:13]
	v_mov_b32_e32 v36, s13
	v_add_co_u32_e64 v12, s[0:1], s12, v12
	v_addc_co_u32_e64 v13, s[0:1], v36, v13, s[0:1]
	v_add_u32_e32 v37, 26, v8
	s_movk_i32 s0, 0x4f
	v_add_u16_e32 v19, 52, v8
	v_mul_lo_u16_sdwa v15, v37, s0 dst_sel:DWORD dst_unused:UNUSED_PAD src0_sel:BYTE_0 src1_sel:DWORD
	v_mul_lo_u16_sdwa v20, v19, s0 dst_sel:DWORD dst_unused:UNUSED_PAD src0_sel:BYTE_0 src1_sel:DWORD
	v_lshrrev_b16_e32 v38, 10, v15
	v_lshrrev_b16_e32 v40, 10, v20
	v_mul_lo_u16_e32 v15, 13, v38
	v_mul_lo_u16_e32 v20, 13, v40
	v_sub_u16_e32 v39, v37, v15
	v_mov_b32_e32 v18, 3
	v_sub_u16_e32 v41, v19, v20
	s_waitcnt lgkmcnt(0)
	; wave barrier
	s_waitcnt lgkmcnt(0)
	global_load_dwordx3 v[12:14], v[12:13], off
	v_mul_u32_u24_sdwa v15, v39, v18 dst_sel:DWORD dst_unused:UNUSED_PAD src0_sel:BYTE_0 src1_sel:DWORD
	v_mul_u32_u24_sdwa v18, v41, v18 dst_sel:DWORD dst_unused:UNUSED_PAD src0_sel:BYTE_0 src1_sel:DWORD
	v_lshlrev_b32_e32 v15, 2, v15
	v_lshlrev_b32_e32 v18, 2, v18
	global_load_dwordx3 v[15:17], v15, s[12:13]
	v_add_u32_e32 v42, 0x200, v26
	global_load_dwordx3 v[18:20], v18, s[12:13]
	ds_read2_b32 v[21:22], v26 offset0:78 offset1:104
	ds_read2_b32 v[28:29], v26 offset0:130 offset1:156
	;; [unrolled: 1-line block ×4, first 2 shown]
	ds_read_b32 v43, v24
	ds_read_b32 v44, v26 offset:1144
	ds_read2_b32 v[34:35], v42 offset0:106 offset1:132
	s_waitcnt lgkmcnt(4)
	v_lshrrev_b32_e32 v45, 16, v30
	v_cmp_lt_u32_e64 s[0:1], 12, v8
	v_lshrrev_b32_e32 v49, 16, v21
	v_lshrrev_b32_e32 v50, 16, v29
	s_waitcnt lgkmcnt(0)
	v_lshrrev_b32_e32 v54, 16, v34
	v_lshrrev_b32_e32 v48, 16, v44
	;; [unrolled: 1-line block ×6, first 2 shown]
	v_lshlrev_b32_e32 v23, 2, v23
	v_lshrrev_b32_e32 v47, 16, v31
	s_waitcnt lgkmcnt(0)
	; wave barrier
	s_movk_i32 s4, 0xd0
	v_lshlrev_b32_e32 v8, 1, v8
	s_waitcnt vmcnt(2)
	v_mul_f16_sdwa v55, v12, v49 dst_sel:DWORD dst_unused:UNUSED_PAD src0_sel:WORD_1 src1_sel:DWORD
	v_mul_f16_sdwa v56, v12, v21 dst_sel:DWORD dst_unused:UNUSED_PAD src0_sel:WORD_1 src1_sel:DWORD
	;; [unrolled: 1-line block ×6, first 2 shown]
	v_fma_f16 v21, v12, v21, -v55
	v_fma_f16 v12, v12, v49, v56
	v_fma_f16 v29, v13, v29, -v57
	v_fma_f16 v13, v13, v50, v58
	;; [unrolled: 2-line block ×3, first 2 shown]
	s_waitcnt vmcnt(1)
	v_mul_f16_sdwa v54, v45, v16 dst_sel:DWORD dst_unused:UNUSED_PAD src0_sel:DWORD src1_sel:WORD_1
	v_mul_f16_sdwa v55, v30, v16 dst_sel:DWORD dst_unused:UNUSED_PAD src0_sel:DWORD src1_sel:WORD_1
	s_waitcnt vmcnt(0)
	v_mul_f16_sdwa v62, v48, v20 dst_sel:DWORD dst_unused:UNUSED_PAD src0_sel:DWORD src1_sel:WORD_1
	v_mul_f16_sdwa v63, v44, v20 dst_sel:DWORD dst_unused:UNUSED_PAD src0_sel:DWORD src1_sel:WORD_1
	v_sub_f16_e32 v29, v43, v29
	v_sub_f16_e32 v13, v52, v13
	;; [unrolled: 1-line block ×4, first 2 shown]
	v_fma_f16 v30, v30, v16, -v54
	v_fma_f16 v16, v45, v16, v55
	v_fma_f16 v44, v44, v20, -v62
	v_fma_f16 v20, v48, v20, v63
	v_fma_f16 v43, v43, 2.0, -v29
	v_fma_f16 v45, v52, 2.0, -v13
	v_fma_f16 v21, v21, 2.0, -v34
	v_fma_f16 v12, v12, 2.0, -v14
	v_mov_b32_e32 v48, 0xd0
	v_mul_f16_sdwa v49, v15, v51 dst_sel:DWORD dst_unused:UNUSED_PAD src0_sel:WORD_1 src1_sel:DWORD
	v_mul_f16_sdwa v50, v15, v22 dst_sel:DWORD dst_unused:UNUSED_PAD src0_sel:WORD_1 src1_sel:DWORD
	v_mul_f16_sdwa v56, v53, v17 dst_sel:DWORD dst_unused:UNUSED_PAD src0_sel:DWORD src1_sel:WORD_1
	v_mul_f16_sdwa v57, v35, v17 dst_sel:DWORD dst_unused:UNUSED_PAD src0_sel:DWORD src1_sel:WORD_1
	;; [unrolled: 1-line block ×4, first 2 shown]
	v_sub_f16_e32 v21, v43, v21
	v_sub_f16_e32 v12, v45, v12
	;; [unrolled: 1-line block ×3, first 2 shown]
	v_add_f16_e32 v34, v13, v34
	v_cndmask_b32_e64 v48, 0, v48, s[0:1]
	v_fma_f16 v22, v15, v22, -v49
	v_fma_f16 v15, v15, v51, v50
	v_fma_f16 v35, v35, v17, -v56
	v_fma_f16 v17, v53, v17, v57
	;; [unrolled: 2-line block ×3, first 2 shown]
	v_fma_f16 v43, v43, 2.0, -v21
	v_fma_f16 v45, v45, 2.0, -v12
	;; [unrolled: 1-line block ×4, first 2 shown]
	v_lshrrev_b32_e32 v46, 16, v32
	v_add_u32_e32 v48, 0, v48
	v_sub_f16_e32 v30, v32, v30
	v_sub_f16_e32 v16, v46, v16
	;; [unrolled: 1-line block ×4, first 2 shown]
	v_add3_u32 v23, v48, v23, v25
	v_pack_b32_f16 v43, v43, v45
	v_pack_b32_f16 v13, v29, v13
	v_mul_f16_sdwa v60, v47, v19 dst_sel:DWORD dst_unused:UNUSED_PAD src0_sel:DWORD src1_sel:WORD_1
	v_mul_f16_sdwa v61, v31, v19 dst_sel:DWORD dst_unused:UNUSED_PAD src0_sel:DWORD src1_sel:WORD_1
	v_fma_f16 v32, v32, 2.0, -v30
	v_fma_f16 v46, v46, 2.0, -v16
	v_fma_f16 v22, v22, 2.0, -v35
	v_fma_f16 v15, v15, 2.0, -v17
	ds_write2_b32 v23, v43, v13 offset1:13
	v_pack_b32_f16 v12, v21, v12
	v_pack_b32_f16 v13, v14, v34
	v_fma_f16 v31, v31, v19, -v60
	v_fma_f16 v19, v47, v19, v61
	v_sub_f16_e32 v22, v32, v22
	v_sub_f16_e32 v15, v46, v15
	;; [unrolled: 1-line block ×3, first 2 shown]
	v_add_f16_e32 v35, v16, v35
	v_lshrrev_b32_e32 v47, 16, v33
	ds_write2_b32 v23, v12, v13 offset0:26 offset1:39
	v_mov_b32_e32 v13, 2
	v_fma_f16 v32, v32, 2.0, -v22
	v_fma_f16 v46, v46, 2.0, -v15
	;; [unrolled: 1-line block ×4, first 2 shown]
	v_sub_f16_e32 v31, v33, v31
	v_sub_f16_e32 v19, v47, v19
	;; [unrolled: 1-line block ×4, first 2 shown]
	v_mad_u32_u24 v12, v38, s4, 0
	v_lshlrev_b32_sdwa v14, v13, v39 dst_sel:DWORD dst_unused:UNUSED_PAD src0_sel:DWORD src1_sel:BYTE_0
	v_fma_f16 v33, v33, 2.0, -v31
	v_fma_f16 v47, v47, 2.0, -v19
	;; [unrolled: 1-line block ×4, first 2 shown]
	v_add3_u32 v12, v12, v14, v25
	v_pack_b32_f16 v14, v32, v46
	v_pack_b32_f16 v16, v30, v16
	v_sub_f16_e32 v28, v33, v28
	v_sub_f16_e32 v18, v47, v18
	;; [unrolled: 1-line block ×3, first 2 shown]
	v_add_f16_e32 v44, v19, v44
	ds_write2_b32 v12, v14, v16 offset1:13
	v_pack_b32_f16 v14, v22, v15
	v_pack_b32_f16 v15, v17, v35
	v_fma_f16 v33, v33, 2.0, -v28
	v_fma_f16 v47, v47, 2.0, -v18
	;; [unrolled: 1-line block ×4, first 2 shown]
	ds_write2_b32 v12, v14, v15 offset0:26 offset1:39
	v_mad_u32_u24 v12, v40, s4, 0
	v_lshlrev_b32_sdwa v13, v13, v41 dst_sel:DWORD dst_unused:UNUSED_PAD src0_sel:DWORD src1_sel:BYTE_0
	v_add3_u32 v12, v12, v13, v25
	v_pack_b32_f16 v13, v33, v47
	v_pack_b32_f16 v14, v31, v19
	ds_write2_b32 v12, v13, v14 offset1:13
	v_pack_b32_f16 v13, v28, v18
	v_pack_b32_f16 v14, v20, v44
	ds_write2_b32 v12, v13, v14 offset0:26 offset1:39
	v_lshlrev_b64 v[12:13], 2, v[8:9]
	s_waitcnt lgkmcnt(0)
	v_add_co_u32_e64 v12, s[0:1], s12, v12
	v_addc_co_u32_e64 v13, s[0:1], v36, v13, s[0:1]
	; wave barrier
	global_load_dwordx2 v[12:13], v[12:13], off offset:156
	v_lshlrev_b32_e32 v8, 1, v37
	v_lshlrev_b64 v[8:9], 2, v[8:9]
	ds_read_b32 v28, v24
	v_add_co_u32_e64 v8, s[0:1], s12, v8
	v_addc_co_u32_e64 v9, s[0:1], v36, v9, s[0:1]
	global_load_dwordx2 v[8:9], v[8:9], off offset:156
	v_add_u32_e32 v25, v27, v25
	ds_read2_b32 v[14:15], v26 offset0:26 offset1:52
	ds_read_b32 v27, v26 offset:1144
	ds_read2_b32 v[16:17], v26 offset0:78 offset1:104
	ds_read2_b32 v[18:19], v42 offset0:106 offset1:132
	;; [unrolled: 1-line block ×4, first 2 shown]
	s_waitcnt lgkmcnt(6)
	v_lshrrev_b32_e32 v29, 16, v28
	s_waitcnt lgkmcnt(3)
	v_lshrrev_b32_e32 v37, 16, v17
	;; [unrolled: 2-line block ×4, first 2 shown]
	v_lshrrev_b32_e32 v35, 16, v27
	s_movk_i32 s0, 0x3aee
	s_mov_b32 s1, 0xbaee
	v_lshrrev_b32_e32 v30, 16, v14
	v_lshrrev_b32_e32 v31, 16, v15
	;; [unrolled: 1-line block ×3, first 2 shown]
	s_waitcnt lgkmcnt(0)
	; wave barrier
	s_waitcnt vmcnt(1) lgkmcnt(0)
	v_mul_f16_sdwa v38, v12, v37 dst_sel:DWORD dst_unused:UNUSED_PAD src0_sel:WORD_1 src1_sel:DWORD
	v_fma_f16 v38, v12, v17, -v38
	v_mul_f16_sdwa v17, v12, v17 dst_sel:DWORD dst_unused:UNUSED_PAD src0_sel:WORD_1 src1_sel:DWORD
	v_fma_f16 v17, v12, v37, v17
	v_lshrrev_b32_e32 v37, 16, v21
	v_mul_f16_sdwa v39, v13, v37 dst_sel:DWORD dst_unused:UNUSED_PAD src0_sel:WORD_1 src1_sel:DWORD
	v_fma_f16 v39, v13, v21, -v39
	v_mul_f16_sdwa v21, v13, v21 dst_sel:DWORD dst_unused:UNUSED_PAD src0_sel:WORD_1 src1_sel:DWORD
	v_fma_f16 v21, v13, v37, v21
	v_lshrrev_b32_e32 v37, 16, v22
	s_waitcnt vmcnt(0)
	v_mul_f16_sdwa v40, v8, v37 dst_sel:DWORD dst_unused:UNUSED_PAD src0_sel:WORD_1 src1_sel:DWORD
	v_fma_f16 v40, v8, v22, -v40
	v_mul_f16_sdwa v22, v8, v22 dst_sel:DWORD dst_unused:UNUSED_PAD src0_sel:WORD_1 src1_sel:DWORD
	v_fma_f16 v22, v8, v37, v22
	v_lshrrev_b32_e32 v37, 16, v18
	v_mul_f16_sdwa v41, v9, v37 dst_sel:DWORD dst_unused:UNUSED_PAD src0_sel:WORD_1 src1_sel:DWORD
	v_fma_f16 v41, v9, v18, -v41
	v_mul_f16_sdwa v18, v9, v18 dst_sel:DWORD dst_unused:UNUSED_PAD src0_sel:WORD_1 src1_sel:DWORD
	v_fma_f16 v18, v9, v37, v18
	v_lshrrev_b32_e32 v37, 16, v23
	v_mul_f16_sdwa v43, v12, v37 dst_sel:DWORD dst_unused:UNUSED_PAD src0_sel:WORD_1 src1_sel:DWORD
	v_fma_f16 v43, v12, v23, -v43
	v_mul_f16_sdwa v23, v12, v23 dst_sel:DWORD dst_unused:UNUSED_PAD src0_sel:WORD_1 src1_sel:DWORD
	v_fma_f16 v12, v12, v37, v23
	v_mul_f16_sdwa v23, v32, v13 dst_sel:DWORD dst_unused:UNUSED_PAD src0_sel:DWORD src1_sel:WORD_1
	v_fma_f16 v23, v19, v13, -v23
	v_mul_f16_sdwa v19, v19, v13 dst_sel:DWORD dst_unused:UNUSED_PAD src0_sel:DWORD src1_sel:WORD_1
	v_fma_f16 v13, v32, v13, v19
	v_mul_f16_sdwa v19, v34, v8 dst_sel:DWORD dst_unused:UNUSED_PAD src0_sel:DWORD src1_sel:WORD_1
	v_fma_f16 v19, v20, v8, -v19
	v_mul_f16_sdwa v20, v20, v8 dst_sel:DWORD dst_unused:UNUSED_PAD src0_sel:DWORD src1_sel:WORD_1
	;; [unrolled: 4-line block ×3, first 2 shown]
	v_add_f16_e32 v32, v38, v39
	v_fma_f16 v9, v35, v9, v27
	v_add_f16_e32 v27, v28, v38
	v_fma_f16 v28, v32, -0.5, v28
	v_sub_f16_e32 v32, v17, v21
	v_fma_f16 v34, v32, s0, v28
	v_fma_f16 v28, v32, s1, v28
	v_add_f16_e32 v32, v29, v17
	v_add_f16_e32 v17, v17, v21
	;; [unrolled: 1-line block ×3, first 2 shown]
	v_fma_f16 v17, v17, -0.5, v29
	v_sub_f16_e32 v21, v38, v39
	v_add_f16_e32 v35, v40, v41
	v_fma_f16 v29, v21, s1, v17
	v_fma_f16 v17, v21, s0, v17
	v_add_f16_e32 v21, v14, v40
	v_fma_f16 v14, v35, -0.5, v14
	v_sub_f16_e32 v35, v22, v18
	v_fma_f16 v37, v35, s0, v14
	v_fma_f16 v14, v35, s1, v14
	v_add_f16_e32 v35, v30, v22
	v_add_f16_e32 v35, v35, v18
	;; [unrolled: 1-line block ×3, first 2 shown]
	v_fma_f16 v18, v18, -0.5, v30
	v_sub_f16_e32 v22, v40, v41
	v_add_f16_e32 v38, v43, v23
	v_fma_f16 v30, v22, s1, v18
	v_fma_f16 v18, v22, s0, v18
	v_add_f16_e32 v22, v15, v43
	v_fma_f16 v15, v38, -0.5, v15
	v_sub_f16_e32 v38, v12, v13
	v_add_f16_e32 v27, v27, v39
	v_fma_f16 v39, v38, s0, v15
	v_fma_f16 v15, v38, s1, v15
	v_add_f16_e32 v38, v31, v12
	v_add_f16_e32 v12, v12, v13
	;; [unrolled: 1-line block ×3, first 2 shown]
	v_fma_f16 v12, v12, -0.5, v31
	v_sub_f16_e32 v13, v43, v23
	v_add_f16_e32 v31, v19, v20
	v_add_f16_e32 v22, v22, v23
	v_fma_f16 v23, v13, s1, v12
	v_fma_f16 v12, v13, s0, v12
	v_add_f16_e32 v13, v16, v19
	v_fma_f16 v16, v31, -0.5, v16
	v_sub_f16_e32 v31, v8, v9
	v_fma_f16 v40, v31, s0, v16
	v_fma_f16 v16, v31, s1, v16
	v_add_f16_e32 v31, v33, v8
	v_add_f16_e32 v8, v8, v9
	;; [unrolled: 1-line block ×5, first 2 shown]
	v_fma_f16 v8, v8, -0.5, v33
	v_sub_f16_e32 v9, v19, v20
	v_pack_b32_f16 v20, v34, v29
	v_pack_b32_f16 v17, v28, v17
	v_fma_f16 v19, v9, s1, v8
	v_fma_f16 v8, v9, s0, v8
	v_pack_b32_f16 v9, v27, v32
	ds_write2_b32 v26, v20, v17 offset0:52 offset1:104
	v_pack_b32_f16 v17, v21, v35
	ds_write2_b32 v26, v9, v17 offset1:26
	v_pack_b32_f16 v9, v37, v30
	v_pack_b32_f16 v14, v14, v18
	ds_write2_b32 v25, v9, v14 offset0:78 offset1:130
	v_pack_b32_f16 v9, v22, v38
	v_pack_b32_f16 v14, v39, v23
	ds_write2_b32 v26, v9, v14 offset0:156 offset1:208
	v_pack_b32_f16 v9, v15, v12
	v_add_co_u32_e64 v6, s[0:1], s12, v6
	ds_write_b32 v26, v9 offset:1040
	v_pack_b32_f16 v9, v13, v31
	v_pack_b32_f16 v12, v40, v19
	;; [unrolled: 1-line block ×3, first 2 shown]
	v_addc_co_u32_e64 v7, s[0:1], v36, v7, s[0:1]
	ds_write2_b32 v25, v9, v12 offset0:182 offset1:234
	ds_write_b32 v25, v8 offset:1144
	s_waitcnt lgkmcnt(0)
	; wave barrier
	s_waitcnt lgkmcnt(0)
	global_load_dword v16, v[6:7], off offset:572
	v_add_co_u32_e64 v6, s[0:1], s12, v10
	v_addc_co_u32_e64 v7, s[0:1], v36, v11, s[0:1]
	global_load_dword v17, v[6:7], off offset:676
	global_load_dword v18, v[6:7], off offset:780
	;; [unrolled: 1-line block ×5, first 2 shown]
	ds_read2_b32 v[6:7], v26 offset0:130 offset1:156
	ds_read2_b32 v[8:9], v26 offset0:26 offset1:52
	;; [unrolled: 1-line block ×5, first 2 shown]
	ds_read_b32 v24, v24
	s_mov_b32 s0, 0xffff
	s_waitcnt vmcnt(5) lgkmcnt(5)
	v_pk_mul_f16 v22, v16, v7 op_sel:[0,1]
	v_pk_fma_f16 v23, v16, v7, v22 op_sel:[0,0,1] op_sel_hi:[1,1,0] neg_lo:[0,0,1] neg_hi:[0,0,1]
	v_pk_fma_f16 v7, v16, v7, v22 op_sel:[0,0,1] op_sel_hi:[1,0,0]
	ds_read_b32 v16, v26 offset:1144
	v_bfi_b32 v7, s0, v23, v7
	s_waitcnt lgkmcnt(1)
	v_pk_add_f16 v7, v24, v7 neg_lo:[0,1] neg_hi:[0,1]
	s_waitcnt vmcnt(4)
	v_pk_mul_f16 v23, v17, v10 op_sel:[0,1]
	v_pk_fma_f16 v22, v24, 2.0, v7 op_sel_hi:[1,0,1] neg_lo:[0,0,1] neg_hi:[0,0,1]
	v_pk_fma_f16 v24, v17, v10, v23 op_sel:[0,0,1] op_sel_hi:[1,1,0] neg_lo:[0,0,1] neg_hi:[0,0,1]
	v_pk_fma_f16 v10, v17, v10, v23 op_sel:[0,0,1] op_sel_hi:[1,0,0]
	s_waitcnt vmcnt(3)
	v_pk_mul_f16 v17, v18, v11 op_sel:[0,1]
	v_pk_fma_f16 v23, v18, v11, v17 op_sel:[0,0,1] op_sel_hi:[1,1,0] neg_lo:[0,0,1] neg_hi:[0,0,1]
	v_pk_fma_f16 v11, v18, v11, v17 op_sel:[0,0,1] op_sel_hi:[1,0,0]
	s_waitcnt vmcnt(2)
	v_pk_mul_f16 v17, v19, v14 op_sel:[0,1]
	;; [unrolled: 4-line block ×3, first 2 shown]
	v_bfi_b32 v14, s0, v18, v14
	v_pk_fma_f16 v18, v20, v15, v17 op_sel:[0,0,1] op_sel_hi:[1,1,0] neg_lo:[0,0,1] neg_hi:[0,0,1]
	v_pk_fma_f16 v15, v20, v15, v17 op_sel:[0,0,1] op_sel_hi:[1,0,0]
	s_waitcnt vmcnt(0) lgkmcnt(0)
	v_pk_mul_f16 v17, v16, v21 op_sel:[0,1]
	v_bfi_b32 v10, s0, v24, v10
	v_bfi_b32 v11, s0, v23, v11
	;; [unrolled: 1-line block ×3, first 2 shown]
	v_pk_fma_f16 v18, v16, v21, v17 op_sel:[0,0,1] op_sel_hi:[1,1,0] neg_lo:[0,0,1] neg_hi:[0,0,1]
	v_pk_fma_f16 v16, v16, v21, v17 op_sel:[0,0,1] op_sel_hi:[1,0,0]
	v_pk_add_f16 v10, v8, v10 neg_lo:[0,1] neg_hi:[0,1]
	v_pk_add_f16 v11, v9, v11 neg_lo:[0,1] neg_hi:[0,1]
	;; [unrolled: 1-line block ×3, first 2 shown]
	v_bfi_b32 v16, s0, v18, v16
	v_pk_fma_f16 v8, v8, 2.0, v10 op_sel_hi:[1,0,1] neg_lo:[0,0,1] neg_hi:[0,0,1]
	v_pk_fma_f16 v9, v9, 2.0, v11 op_sel_hi:[1,0,1] neg_lo:[0,0,1] neg_hi:[0,0,1]
	;; [unrolled: 1-line block ×3, first 2 shown]
	v_pk_add_f16 v15, v13, v15 neg_lo:[0,1] neg_hi:[0,1]
	v_pk_add_f16 v16, v6, v16 neg_lo:[0,1] neg_hi:[0,1]
	s_waitcnt lgkmcnt(0)
	; wave barrier
	ds_write_b32 v26, v7 offset:624
	ds_write2_b32 v26, v22, v8 offset1:26
	ds_write2_b32 v25, v10, v11 offset0:182 offset1:208
	ds_write2_b32 v26, v9, v12 offset0:52 offset1:78
	v_add_u32_e32 v7, 0x200, v25
	v_pk_fma_f16 v13, v13, 2.0, v15 op_sel_hi:[1,0,1] neg_lo:[0,0,1] neg_hi:[0,0,1]
	v_pk_fma_f16 v6, v6, 2.0, v16 op_sel_hi:[1,0,1] neg_lo:[0,0,1] neg_hi:[0,0,1]
	ds_write2_b32 v7, v14, v15 offset0:106 offset1:132
	ds_write2_b32 v26, v13, v6 offset0:104 offset1:130
	ds_write_b32 v25, v16 offset:1144
	s_waitcnt lgkmcnt(0)
	; wave barrier
	s_waitcnt lgkmcnt(0)
	s_and_saveexec_b64 s[0:1], vcc
	s_cbranch_execz .LBB0_23
; %bb.22:
	v_mul_lo_u32 v6, s3, v3
	v_mul_lo_u32 v7, s2, v4
	v_mad_u64_u32 v[3:4], s[0:1], s2, v3, 0
	v_lshl_add_u32 v9, v5, 2, v0
	v_mov_b32_e32 v0, s11
	v_add3_u32 v4, v4, v7, v6
	v_lshlrev_b64 v[3:4], 2, v[3:4]
	v_mov_b32_e32 v6, 0
	v_add_co_u32_e32 v3, vcc, s10, v3
	v_addc_co_u32_e32 v4, vcc, v0, v4, vcc
	v_lshlrev_b64 v[0:1], 2, v[1:2]
	ds_read2_b32 v[7:8], v9 offset1:26
	v_add_co_u32_e32 v10, vcc, v3, v0
	v_addc_co_u32_e32 v4, vcc, v4, v1, vcc
	v_lshlrev_b64 v[0:1], 2, v[5:6]
	ds_read2_b32 v[2:3], v9 offset0:52 offset1:78
	v_add_co_u32_e32 v0, vcc, v10, v0
	v_addc_co_u32_e32 v1, vcc, v4, v1, vcc
	s_waitcnt lgkmcnt(1)
	global_store_dword v[0:1], v7, off
	v_add_u32_e32 v0, 26, v5
	v_mov_b32_e32 v1, v6
	v_lshlrev_b64 v[0:1], 2, v[0:1]
	v_add_co_u32_e32 v0, vcc, v10, v0
	v_addc_co_u32_e32 v1, vcc, v4, v1, vcc
	global_store_dword v[0:1], v8, off
	v_add_u32_e32 v0, 52, v5
	v_mov_b32_e32 v1, v6
	v_lshlrev_b64 v[0:1], 2, v[0:1]
	v_add_co_u32_e32 v0, vcc, v10, v0
	v_addc_co_u32_e32 v1, vcc, v4, v1, vcc
	s_waitcnt lgkmcnt(0)
	global_store_dword v[0:1], v2, off
	v_add_u32_e32 v0, 0x4e, v5
	v_mov_b32_e32 v1, v6
	v_lshlrev_b64 v[0:1], 2, v[0:1]
	v_add_co_u32_e32 v0, vcc, v10, v0
	v_addc_co_u32_e32 v1, vcc, v4, v1, vcc
	global_store_dword v[0:1], v3, off
	v_add_u32_e32 v0, 0x68, v5
	v_mov_b32_e32 v1, v6
	ds_read2_b32 v[2:3], v9 offset0:104 offset1:130
	v_lshlrev_b64 v[0:1], 2, v[0:1]
	v_add_co_u32_e32 v0, vcc, v10, v0
	v_addc_co_u32_e32 v1, vcc, v4, v1, vcc
	s_waitcnt lgkmcnt(0)
	global_store_dword v[0:1], v2, off
	v_add_u32_e32 v0, 0x82, v5
	v_mov_b32_e32 v1, v6
	v_lshlrev_b64 v[0:1], 2, v[0:1]
	v_add_co_u32_e32 v0, vcc, v10, v0
	v_addc_co_u32_e32 v1, vcc, v4, v1, vcc
	global_store_dword v[0:1], v3, off
	v_add_u32_e32 v0, 0x9c, v5
	v_mov_b32_e32 v1, v6
	ds_read2_b32 v[2:3], v9 offset0:156 offset1:182
	;; [unrolled: 14-line block ×3, first 2 shown]
	v_lshlrev_b64 v[0:1], 2, v[0:1]
	v_add_co_u32_e32 v0, vcc, v10, v0
	v_addc_co_u32_e32 v1, vcc, v4, v1, vcc
	s_waitcnt lgkmcnt(0)
	global_store_dword v[0:1], v2, off
	v_add_u32_e32 v0, 0xea, v5
	v_mov_b32_e32 v1, v6
	v_lshlrev_b64 v[0:1], 2, v[0:1]
	v_add_u32_e32 v2, 0x400, v9
	v_add_co_u32_e32 v0, vcc, v10, v0
	v_addc_co_u32_e32 v1, vcc, v4, v1, vcc
	global_store_dword v[0:1], v3, off
	v_add_u32_e32 v0, 0x104, v5
	v_mov_b32_e32 v1, v6
	ds_read2_b32 v[2:3], v2 offset0:4 offset1:30
	v_lshlrev_b64 v[0:1], 2, v[0:1]
	v_add_u32_e32 v5, 0x11e, v5
	v_add_co_u32_e32 v0, vcc, v10, v0
	v_addc_co_u32_e32 v1, vcc, v4, v1, vcc
	s_waitcnt lgkmcnt(0)
	global_store_dword v[0:1], v2, off
	v_lshlrev_b64 v[0:1], 2, v[5:6]
	v_add_co_u32_e32 v0, vcc, v10, v0
	v_addc_co_u32_e32 v1, vcc, v4, v1, vcc
	global_store_dword v[0:1], v3, off
.LBB0_23:
	s_endpgm
	.section	.rodata,"a",@progbits
	.p2align	6, 0x0
	.amdhsa_kernel fft_rtc_fwd_len312_factors_13_4_3_2_wgs_52_tpt_26_half_op_CI_CI_unitstride_sbrr_C2R_dirReg
		.amdhsa_group_segment_fixed_size 0
		.amdhsa_private_segment_fixed_size 0
		.amdhsa_kernarg_size 104
		.amdhsa_user_sgpr_count 6
		.amdhsa_user_sgpr_private_segment_buffer 1
		.amdhsa_user_sgpr_dispatch_ptr 0
		.amdhsa_user_sgpr_queue_ptr 0
		.amdhsa_user_sgpr_kernarg_segment_ptr 1
		.amdhsa_user_sgpr_dispatch_id 0
		.amdhsa_user_sgpr_flat_scratch_init 0
		.amdhsa_user_sgpr_private_segment_size 0
		.amdhsa_uses_dynamic_stack 0
		.amdhsa_system_sgpr_private_segment_wavefront_offset 0
		.amdhsa_system_sgpr_workgroup_id_x 1
		.amdhsa_system_sgpr_workgroup_id_y 0
		.amdhsa_system_sgpr_workgroup_id_z 0
		.amdhsa_system_sgpr_workgroup_info 0
		.amdhsa_system_vgpr_workitem_id 0
		.amdhsa_next_free_vgpr 94
		.amdhsa_next_free_sgpr 28
		.amdhsa_reserve_vcc 1
		.amdhsa_reserve_flat_scratch 0
		.amdhsa_float_round_mode_32 0
		.amdhsa_float_round_mode_16_64 0
		.amdhsa_float_denorm_mode_32 3
		.amdhsa_float_denorm_mode_16_64 3
		.amdhsa_dx10_clamp 1
		.amdhsa_ieee_mode 1
		.amdhsa_fp16_overflow 0
		.amdhsa_exception_fp_ieee_invalid_op 0
		.amdhsa_exception_fp_denorm_src 0
		.amdhsa_exception_fp_ieee_div_zero 0
		.amdhsa_exception_fp_ieee_overflow 0
		.amdhsa_exception_fp_ieee_underflow 0
		.amdhsa_exception_fp_ieee_inexact 0
		.amdhsa_exception_int_div_zero 0
	.end_amdhsa_kernel
	.text
.Lfunc_end0:
	.size	fft_rtc_fwd_len312_factors_13_4_3_2_wgs_52_tpt_26_half_op_CI_CI_unitstride_sbrr_C2R_dirReg, .Lfunc_end0-fft_rtc_fwd_len312_factors_13_4_3_2_wgs_52_tpt_26_half_op_CI_CI_unitstride_sbrr_C2R_dirReg
                                        ; -- End function
	.section	.AMDGPU.csdata,"",@progbits
; Kernel info:
; codeLenInByte = 8812
; NumSgprs: 32
; NumVgprs: 94
; ScratchSize: 0
; MemoryBound: 0
; FloatMode: 240
; IeeeMode: 1
; LDSByteSize: 0 bytes/workgroup (compile time only)
; SGPRBlocks: 3
; VGPRBlocks: 23
; NumSGPRsForWavesPerEU: 32
; NumVGPRsForWavesPerEU: 94
; Occupancy: 2
; WaveLimiterHint : 1
; COMPUTE_PGM_RSRC2:SCRATCH_EN: 0
; COMPUTE_PGM_RSRC2:USER_SGPR: 6
; COMPUTE_PGM_RSRC2:TRAP_HANDLER: 0
; COMPUTE_PGM_RSRC2:TGID_X_EN: 1
; COMPUTE_PGM_RSRC2:TGID_Y_EN: 0
; COMPUTE_PGM_RSRC2:TGID_Z_EN: 0
; COMPUTE_PGM_RSRC2:TIDIG_COMP_CNT: 0
	.type	__hip_cuid_c7d9366b878a0198,@object ; @__hip_cuid_c7d9366b878a0198
	.section	.bss,"aw",@nobits
	.globl	__hip_cuid_c7d9366b878a0198
__hip_cuid_c7d9366b878a0198:
	.byte	0                               ; 0x0
	.size	__hip_cuid_c7d9366b878a0198, 1

	.ident	"AMD clang version 19.0.0git (https://github.com/RadeonOpenCompute/llvm-project roc-6.4.0 25133 c7fe45cf4b819c5991fe208aaa96edf142730f1d)"
	.section	".note.GNU-stack","",@progbits
	.addrsig
	.addrsig_sym __hip_cuid_c7d9366b878a0198
	.amdgpu_metadata
---
amdhsa.kernels:
  - .args:
      - .actual_access:  read_only
        .address_space:  global
        .offset:         0
        .size:           8
        .value_kind:     global_buffer
      - .offset:         8
        .size:           8
        .value_kind:     by_value
      - .actual_access:  read_only
        .address_space:  global
        .offset:         16
        .size:           8
        .value_kind:     global_buffer
      - .actual_access:  read_only
        .address_space:  global
        .offset:         24
        .size:           8
        .value_kind:     global_buffer
      - .actual_access:  read_only
        .address_space:  global
        .offset:         32
        .size:           8
        .value_kind:     global_buffer
      - .offset:         40
        .size:           8
        .value_kind:     by_value
      - .actual_access:  read_only
        .address_space:  global
        .offset:         48
        .size:           8
        .value_kind:     global_buffer
      - .actual_access:  read_only
        .address_space:  global
        .offset:         56
        .size:           8
        .value_kind:     global_buffer
      - .offset:         64
        .size:           4
        .value_kind:     by_value
      - .actual_access:  read_only
        .address_space:  global
        .offset:         72
        .size:           8
        .value_kind:     global_buffer
      - .actual_access:  read_only
        .address_space:  global
        .offset:         80
        .size:           8
        .value_kind:     global_buffer
      - .actual_access:  read_only
        .address_space:  global
        .offset:         88
        .size:           8
        .value_kind:     global_buffer
      - .actual_access:  write_only
        .address_space:  global
        .offset:         96
        .size:           8
        .value_kind:     global_buffer
    .group_segment_fixed_size: 0
    .kernarg_segment_align: 8
    .kernarg_segment_size: 104
    .language:       OpenCL C
    .language_version:
      - 2
      - 0
    .max_flat_workgroup_size: 52
    .name:           fft_rtc_fwd_len312_factors_13_4_3_2_wgs_52_tpt_26_half_op_CI_CI_unitstride_sbrr_C2R_dirReg
    .private_segment_fixed_size: 0
    .sgpr_count:     32
    .sgpr_spill_count: 0
    .symbol:         fft_rtc_fwd_len312_factors_13_4_3_2_wgs_52_tpt_26_half_op_CI_CI_unitstride_sbrr_C2R_dirReg.kd
    .uniform_work_group_size: 1
    .uses_dynamic_stack: false
    .vgpr_count:     94
    .vgpr_spill_count: 0
    .wavefront_size: 64
amdhsa.target:   amdgcn-amd-amdhsa--gfx906
amdhsa.version:
  - 1
  - 2
...

	.end_amdgpu_metadata
